;; amdgpu-corpus repo=ROCm/rocFFT kind=compiled arch=gfx1030 opt=O3
	.text
	.amdgcn_target "amdgcn-amd-amdhsa--gfx1030"
	.amdhsa_code_object_version 6
	.protected	fft_rtc_back_len168_factors_7_6_4_wgs_252_tpt_42_halfLds_half_op_CI_CI_sbcc_twdbase8_3step_dirReg_intrinsicReadWrite ; -- Begin function fft_rtc_back_len168_factors_7_6_4_wgs_252_tpt_42_halfLds_half_op_CI_CI_sbcc_twdbase8_3step_dirReg_intrinsicReadWrite
	.globl	fft_rtc_back_len168_factors_7_6_4_wgs_252_tpt_42_halfLds_half_op_CI_CI_sbcc_twdbase8_3step_dirReg_intrinsicReadWrite
	.p2align	8
	.type	fft_rtc_back_len168_factors_7_6_4_wgs_252_tpt_42_halfLds_half_op_CI_CI_sbcc_twdbase8_3step_dirReg_intrinsicReadWrite,@function
fft_rtc_back_len168_factors_7_6_4_wgs_252_tpt_42_halfLds_half_op_CI_CI_sbcc_twdbase8_3step_dirReg_intrinsicReadWrite: ; @fft_rtc_back_len168_factors_7_6_4_wgs_252_tpt_42_halfLds_half_op_CI_CI_sbcc_twdbase8_3step_dirReg_intrinsicReadWrite
; %bb.0:
	s_clause 0x1
	s_load_dwordx4 s[0:3], s[4:5], 0x18
	s_load_dwordx2 s[30:31], s[4:5], 0x28
	s_mov_b64 s[24:25], 0
	s_waitcnt lgkmcnt(0)
	s_load_dwordx2 s[28:29], s[0:1], 0x8
	s_waitcnt lgkmcnt(0)
	s_add_u32 s7, s28, -1
	s_addc_u32 s8, s29, -1
	s_add_u32 s9, 0, 0xaaa80000
	s_addc_u32 s10, 0, 0xaa
	s_mul_hi_u32 s12, s9, -6
	s_add_i32 s10, s10, 0x2aaaaa00
	s_sub_i32 s12, s12, s9
	s_mul_i32 s14, s10, -6
	s_mul_i32 s11, s9, -6
	s_add_i32 s12, s12, s14
	s_mul_hi_u32 s13, s9, s11
	s_mul_i32 s16, s9, s12
	s_mul_hi_u32 s14, s9, s12
	s_mul_hi_u32 s15, s10, s11
	s_mul_i32 s11, s10, s11
	s_add_u32 s13, s13, s16
	s_addc_u32 s14, 0, s14
	s_mul_hi_u32 s17, s10, s12
	s_add_u32 s11, s13, s11
	s_mul_i32 s12, s10, s12
	s_addc_u32 s11, s14, s15
	s_addc_u32 s13, s17, 0
	s_add_u32 s11, s11, s12
	v_add_co_u32 v1, s9, s9, s11
	s_addc_u32 s11, 0, s13
	s_cmp_lg_u32 s9, 0
	s_addc_u32 s9, s10, s11
	v_readfirstlane_b32 s10, v1
	s_mul_i32 s12, s7, s9
	s_mul_hi_u32 s11, s7, s9
	s_mul_hi_u32 s13, s8, s9
	s_mul_i32 s9, s8, s9
	s_mul_hi_u32 s14, s7, s10
	s_mul_hi_u32 s15, s8, s10
	s_mul_i32 s10, s8, s10
	s_add_u32 s12, s14, s12
	s_addc_u32 s11, 0, s11
	s_add_u32 s10, s12, s10
	s_addc_u32 s10, s11, s15
	s_addc_u32 s11, s13, 0
	s_add_u32 s9, s10, s9
	s_addc_u32 s10, 0, s11
	s_mul_i32 s12, s9, 6
	s_add_u32 s11, s9, 1
	v_sub_co_u32 v1, s7, s7, s12
	s_mul_hi_u32 s12, s9, 6
	s_addc_u32 s13, s10, 0
	s_mul_i32 s14, s10, 6
	v_sub_co_u32 v2, s15, v1, 6
	s_add_u32 s16, s9, 2
	s_addc_u32 s17, s10, 0
	s_add_i32 s12, s12, s14
	s_cmp_lg_u32 s7, 0
	v_readfirstlane_b32 s7, v2
	s_subb_u32 s8, s8, s12
	s_cmp_lg_u32 s15, 0
	s_subb_u32 s12, s8, 0
	s_cmp_gt_u32 s7, 5
	s_cselect_b32 s7, -1, 0
	s_cmp_eq_u32 s12, 0
	v_readfirstlane_b32 s12, v1
	s_cselect_b32 s7, s7, -1
	s_cmp_lg_u32 s7, 0
	s_cselect_b32 s11, s16, s11
	s_cselect_b32 s13, s17, s13
	s_cmp_gt_u32 s12, 5
	s_cselect_b32 s7, -1, 0
	s_cmp_eq_u32 s8, 0
	s_cselect_b32 s7, s7, -1
	s_cmp_lg_u32 s7, 0
	s_mov_b32 s7, 0
	s_cselect_b32 s8, s11, s9
	s_cselect_b32 s9, s13, s10
	s_add_u32 s34, s8, 1
	s_addc_u32 s35, s9, 0
	v_cmp_lt_u64_e64 s8, s[6:7], s[34:35]
	s_and_b32 vcc_lo, exec_lo, s8
	s_cbranch_vccnz .LBB0_2
; %bb.1:
	v_cvt_f32_u32_e32 v1, s34
	s_sub_i32 s9, 0, s34
	s_mov_b32 s25, s7
	v_rcp_iflag_f32_e32 v1, v1
	v_mul_f32_e32 v1, 0x4f7ffffe, v1
	v_cvt_u32_f32_e32 v1, v1
	v_readfirstlane_b32 s8, v1
	s_mul_i32 s9, s9, s8
	s_mul_hi_u32 s9, s8, s9
	s_add_i32 s8, s8, s9
	s_mul_hi_u32 s8, s6, s8
	s_mul_i32 s9, s8, s34
	s_add_i32 s10, s8, 1
	s_sub_i32 s9, s6, s9
	s_sub_i32 s11, s9, s34
	s_cmp_ge_u32 s9, s34
	s_cselect_b32 s8, s10, s8
	s_cselect_b32 s9, s11, s9
	s_add_i32 s10, s8, 1
	s_cmp_ge_u32 s9, s34
	s_cselect_b32 s24, s10, s8
.LBB0_2:
	s_load_dwordx4 s[20:23], s[2:3], 0x0
	s_load_dwordx4 s[8:11], s[30:31], 0x0
	s_clause 0x1
	s_load_dwordx4 s[16:19], s[4:5], 0x8
	s_load_dwordx2 s[26:27], s[4:5], 0x0
	s_waitcnt lgkmcnt(0)
	s_mul_i32 s9, s24, s35
	s_mul_hi_u32 s12, s24, s34
	s_mul_i32 s13, s24, s34
	s_add_i32 s12, s12, s9
	s_sub_u32 s33, s6, s13
	s_subb_u32 s9, 0, s12
	s_load_dwordx4 s[12:15], s[4:5], 0x60
	s_mul_hi_u32 s21, s33, 6
	s_mul_i32 s9, s9, 6
	s_mul_i32 s33, s33, 6
	s_add_i32 s21, s21, s9
	s_mul_i32 s4, s22, s21
	s_mul_hi_u32 s5, s22, s33
	v_cmp_lt_u64_e64 s38, s[18:19], 3
	s_mul_i32 s9, s23, s33
	s_mul_i32 s23, s10, s21
	s_mul_hi_u32 s36, s10, s33
	s_mul_i32 s37, s11, s33
	s_add_i32 s4, s5, s4
	s_add_i32 s5, s36, s23
	;; [unrolled: 1-line block ×3, first 2 shown]
	s_mul_i32 s11, s22, s33
	s_add_i32 s46, s5, s37
	s_and_b32 vcc_lo, exec_lo, s38
	s_mul_i32 s9, s10, s33
	s_cbranch_vccnz .LBB0_12
; %bb.3:
	s_add_u32 s4, s30, 16
	s_addc_u32 s5, s31, 0
	s_add_u32 s36, s2, 16
	s_addc_u32 s37, s3, 0
	;; [unrolled: 2-line block ×3, first 2 shown]
	s_mov_b64 s[38:39], 2
	s_mov_b32 s40, 0
.LBB0_4:                                ; =>This Inner Loop Header: Depth=1
	s_load_dwordx2 s[42:43], s[0:1], 0x0
	s_waitcnt lgkmcnt(0)
	s_or_b64 s[44:45], s[24:25], s[42:43]
	s_mov_b32 s41, s45
                                        ; implicit-def: $sgpr44_sgpr45
	s_cmp_lg_u64 s[40:41], 0
	s_mov_b32 s41, -1
	s_cbranch_scc0 .LBB0_6
; %bb.5:                                ;   in Loop: Header=BB0_4 Depth=1
	v_cvt_f32_u32_e32 v1, s42
	v_cvt_f32_u32_e32 v2, s43
	s_sub_u32 s45, 0, s42
	s_subb_u32 s47, 0, s43
	v_fmac_f32_e32 v1, 0x4f800000, v2
	v_rcp_f32_e32 v1, v1
	v_mul_f32_e32 v1, 0x5f7ffffc, v1
	v_mul_f32_e32 v2, 0x2f800000, v1
	v_trunc_f32_e32 v2, v2
	v_fmac_f32_e32 v1, 0xcf800000, v2
	v_cvt_u32_f32_e32 v2, v2
	v_cvt_u32_f32_e32 v1, v1
	v_readfirstlane_b32 s41, v2
	v_readfirstlane_b32 s44, v1
	s_mul_i32 s48, s45, s41
	s_mul_hi_u32 s50, s45, s44
	s_mul_i32 s49, s47, s44
	s_add_i32 s48, s50, s48
	s_mul_i32 s51, s45, s44
	s_add_i32 s48, s48, s49
	s_mul_hi_u32 s50, s44, s51
	s_mul_hi_u32 s52, s41, s51
	s_mul_i32 s49, s41, s51
	s_mul_hi_u32 s51, s44, s48
	s_mul_i32 s44, s44, s48
	s_mul_hi_u32 s53, s41, s48
	s_add_u32 s44, s50, s44
	s_addc_u32 s50, 0, s51
	s_add_u32 s44, s44, s49
	s_mul_i32 s48, s41, s48
	s_addc_u32 s44, s50, s52
	s_addc_u32 s49, s53, 0
	s_add_u32 s44, s44, s48
	s_addc_u32 s48, 0, s49
	v_add_co_u32 v1, s44, v1, s44
	s_cmp_lg_u32 s44, 0
	s_addc_u32 s41, s41, s48
	v_readfirstlane_b32 s44, v1
	s_mul_i32 s48, s45, s41
	s_mul_hi_u32 s49, s45, s44
	s_mul_i32 s47, s47, s44
	s_add_i32 s48, s49, s48
	s_mul_i32 s45, s45, s44
	s_add_i32 s48, s48, s47
	s_mul_hi_u32 s49, s41, s45
	s_mul_i32 s50, s41, s45
	s_mul_hi_u32 s45, s44, s45
	s_mul_hi_u32 s51, s44, s48
	s_mul_i32 s44, s44, s48
	s_mul_hi_u32 s47, s41, s48
	s_add_u32 s44, s45, s44
	s_addc_u32 s45, 0, s51
	s_add_u32 s44, s44, s50
	s_mul_i32 s48, s41, s48
	s_addc_u32 s44, s45, s49
	s_addc_u32 s45, s47, 0
	s_add_u32 s44, s44, s48
	s_addc_u32 s45, 0, s45
	v_add_co_u32 v1, s44, v1, s44
	s_cmp_lg_u32 s44, 0
	s_addc_u32 s41, s41, s45
	v_readfirstlane_b32 s44, v1
	s_mul_i32 s47, s24, s41
	s_mul_hi_u32 s45, s24, s41
	s_mul_hi_u32 s48, s25, s41
	s_mul_i32 s41, s25, s41
	s_mul_hi_u32 s49, s24, s44
	s_mul_hi_u32 s50, s25, s44
	s_mul_i32 s44, s25, s44
	s_add_u32 s47, s49, s47
	s_addc_u32 s45, 0, s45
	s_add_u32 s44, s47, s44
	s_addc_u32 s44, s45, s50
	s_addc_u32 s45, s48, 0
	s_add_u32 s44, s44, s41
	s_addc_u32 s45, 0, s45
	s_mul_hi_u32 s41, s42, s44
	s_mul_i32 s48, s42, s45
	s_mul_i32 s49, s42, s44
	s_add_i32 s41, s41, s48
	v_sub_co_u32 v1, s48, s24, s49
	s_mul_i32 s47, s43, s44
	s_add_i32 s41, s41, s47
	v_sub_co_u32 v2, s49, v1, s42
	s_sub_i32 s47, s25, s41
	s_cmp_lg_u32 s48, 0
	s_subb_u32 s47, s47, s43
	s_cmp_lg_u32 s49, 0
	v_readfirstlane_b32 s49, v2
	s_subb_u32 s47, s47, 0
	s_cmp_ge_u32 s47, s43
	s_cselect_b32 s50, -1, 0
	s_cmp_ge_u32 s49, s42
	s_cselect_b32 s49, -1, 0
	s_cmp_eq_u32 s47, s43
	s_cselect_b32 s47, s49, s50
	s_add_u32 s49, s44, 1
	s_addc_u32 s50, s45, 0
	s_add_u32 s51, s44, 2
	s_addc_u32 s52, s45, 0
	s_cmp_lg_u32 s47, 0
	s_cselect_b32 s47, s51, s49
	s_cselect_b32 s49, s52, s50
	s_cmp_lg_u32 s48, 0
	v_readfirstlane_b32 s48, v1
	s_subb_u32 s41, s25, s41
	s_cmp_ge_u32 s41, s43
	s_cselect_b32 s50, -1, 0
	s_cmp_ge_u32 s48, s42
	s_cselect_b32 s48, -1, 0
	s_cmp_eq_u32 s41, s43
	s_cselect_b32 s41, s48, s50
	s_cmp_lg_u32 s41, 0
	s_mov_b32 s41, 0
	s_cselect_b32 s45, s49, s45
	s_cselect_b32 s44, s47, s44
.LBB0_6:                                ;   in Loop: Header=BB0_4 Depth=1
	s_andn2_b32 vcc_lo, exec_lo, s41
	s_cbranch_vccnz .LBB0_8
; %bb.7:                                ;   in Loop: Header=BB0_4 Depth=1
	v_cvt_f32_u32_e32 v1, s42
	s_sub_i32 s44, 0, s42
	v_rcp_iflag_f32_e32 v1, v1
	v_mul_f32_e32 v1, 0x4f7ffffe, v1
	v_cvt_u32_f32_e32 v1, v1
	v_readfirstlane_b32 s41, v1
	s_mul_i32 s44, s44, s41
	s_mul_hi_u32 s44, s41, s44
	s_add_i32 s41, s41, s44
	s_mul_hi_u32 s41, s24, s41
	s_mul_i32 s44, s41, s42
	s_add_i32 s45, s41, 1
	s_sub_i32 s44, s24, s44
	s_sub_i32 s47, s44, s42
	s_cmp_ge_u32 s44, s42
	s_cselect_b32 s41, s45, s41
	s_cselect_b32 s44, s47, s44
	s_add_i32 s45, s41, 1
	s_cmp_ge_u32 s44, s42
	s_cselect_b32 s44, s45, s41
	s_mov_b32 s45, s40
.LBB0_8:                                ;   in Loop: Header=BB0_4 Depth=1
	s_load_dwordx2 s[48:49], s[36:37], 0x0
	s_load_dwordx2 s[50:51], s[4:5], 0x0
	s_mul_i32 s35, s42, s35
	s_mul_hi_u32 s41, s42, s34
	s_mul_i32 s47, s43, s34
	s_mul_i32 s43, s44, s43
	s_mul_hi_u32 s52, s44, s42
	s_mul_i32 s53, s45, s42
	s_add_i32 s35, s41, s35
	s_add_i32 s41, s52, s43
	s_mul_i32 s54, s44, s42
	s_add_i32 s35, s35, s47
	s_add_i32 s41, s41, s53
	s_sub_u32 s24, s24, s54
	s_subb_u32 s25, s25, s41
	s_mul_i32 s34, s42, s34
	s_waitcnt lgkmcnt(0)
	s_mul_i32 s41, s48, s25
	s_mul_hi_u32 s43, s48, s24
	s_mul_i32 s47, s49, s24
	s_add_i32 s41, s43, s41
	s_mul_i32 s48, s48, s24
	s_mul_i32 s25, s50, s25
	s_mul_hi_u32 s43, s50, s24
	s_add_i32 s41, s41, s47
	s_add_u32 s11, s48, s11
	s_addc_u32 s23, s41, s23
	s_add_i32 s25, s43, s25
	s_mul_i32 s41, s51, s24
	s_mul_i32 s24, s50, s24
	s_add_i32 s25, s25, s41
	s_add_u32 s9, s24, s9
	s_addc_u32 s46, s25, s46
	s_add_u32 s38, s38, 1
	s_addc_u32 s39, s39, 0
	s_add_u32 s4, s4, 8
	v_cmp_ge_u64_e64 s24, s[38:39], s[18:19]
	s_addc_u32 s5, s5, 0
	s_add_u32 s36, s36, 8
	s_addc_u32 s37, s37, 0
	s_add_u32 s0, s0, 8
	s_addc_u32 s1, s1, 0
	s_and_b32 vcc_lo, exec_lo, s24
	s_cbranch_vccnz .LBB0_10
; %bb.9:                                ;   in Loop: Header=BB0_4 Depth=1
	s_mov_b64 s[24:25], s[44:45]
	s_branch .LBB0_4
.LBB0_10:
	v_cmp_lt_u64_e64 s0, s[6:7], s[34:35]
	s_mov_b64 s[24:25], 0
	s_and_b32 vcc_lo, exec_lo, s0
	s_cbranch_vccnz .LBB0_12
; %bb.11:
	v_cvt_f32_u32_e32 v1, s34
	s_sub_i32 s1, 0, s34
	v_rcp_iflag_f32_e32 v1, v1
	v_mul_f32_e32 v1, 0x4f7ffffe, v1
	v_cvt_u32_f32_e32 v1, v1
	v_readfirstlane_b32 s0, v1
	s_mul_i32 s1, s1, s0
	s_mul_hi_u32 s1, s0, s1
	s_add_i32 s0, s0, s1
	s_mul_hi_u32 s0, s6, s0
	s_mul_i32 s1, s0, s34
	s_add_i32 s4, s0, 1
	s_sub_i32 s1, s6, s1
	s_sub_i32 s5, s1, s34
	s_cmp_ge_u32 s1, s34
	s_cselect_b32 s0, s4, s0
	s_cselect_b32 s1, s5, s1
	s_add_i32 s4, s0, 1
	s_cmp_ge_u32 s1, s34
	s_cselect_b32 s24, s4, s0
.LBB0_12:
	v_mul_u32_u24_e32 v1, 0x2aab, v0
	s_lshl_b64 s[18:19], s[18:19], 3
	s_waitcnt lgkmcnt(0)
	s_mov_b32 s4, s12
	s_add_u32 s0, s2, s18
	s_addc_u32 s1, s3, s19
	v_lshrrev_b32_e32 v4, 16, v1
	s_load_dword s2, s[0:1], 0x0
	v_cmp_gt_u32_e64 s1, 0x90, v0
	s_mov_b32 s5, s13
	v_cmp_lt_u32_e64 s0, 0x8f, v0
	v_mul_lo_u16 v1, v4, 6
	v_add_nc_u32_e32 v8, 48, v4
	v_cndmask_b32_e64 v5, 0, 1, s1
	v_add_nc_u32_e32 v9, 0x48, v4
	v_add_nc_u32_e32 v10, 0x60, v4
	v_sub_nc_u16 v1, v0, v1
	v_add_nc_u32_e32 v12, 0x90, v4
	v_add_nc_u32_e32 v7, 24, v4
	;; [unrolled: 1-line block ×3, first 2 shown]
	v_mul_lo_u32 v6, s20, v4
	v_and_b32_e32 v3, 0xffff, v1
	s_mov_b32 s7, 0x31014000
	v_mul_lo_u32 v7, s20, v7
	v_mul_lo_u32 v11, s20, v11
	s_mov_b32 s6, -2
	v_add_co_u32 v1, s3, s33, v3
	s_waitcnt lgkmcnt(0)
	s_mul_i32 s2, s2, s24
	v_add_co_ci_u32_e64 v2, null, s21, 0, s3
	s_add_i32 s23, s2, s11
	s_add_u32 s2, s30, s18
	s_addc_u32 s3, s31, s19
	s_add_u32 s12, s33, 6
	v_cmp_gt_u64_e32 vcc_lo, s[28:29], v[1:2]
	s_addc_u32 s13, s21, 0
	v_mul_lo_u32 v13, s22, v3
	v_cmp_le_u64_e64 s11, s[12:13], s[28:29]
	s_lshl_b32 s12, s23, 2
	v_cndmask_b32_e64 v2, 0, 1, vcc_lo
	s_or_b32 s0, s0, s11
	v_add_lshl_u32 v7, v13, v7, 2
	v_cndmask_b32_e64 v2, v2, v5, s0
	v_mul_lo_u32 v5, s20, v8
	v_mul_lo_u32 v8, s20, v9
	;; [unrolled: 1-line block ×4, first 2 shown]
	v_and_b32_e32 v2, 1, v2
	v_add_lshl_u32 v6, v13, v6, 2
	v_add_lshl_u32 v5, v13, v5, 2
	v_cmp_eq_u32_e64 s0, 1, v2
	v_add_lshl_u32 v2, v13, v8, 2
	v_add_lshl_u32 v8, v13, v9, 2
	;; [unrolled: 1-line block ×4, first 2 shown]
	v_cndmask_b32_e64 v7, -1, v7, s0
	v_cndmask_b32_e64 v2, -1, v2, s0
	;; [unrolled: 1-line block ×7, first 2 shown]
	s_clause 0x6
	buffer_load_dword v2, v2, s[4:7], s12 offen
	buffer_load_dword v8, v8, s[4:7], s12 offen
	;; [unrolled: 1-line block ×7, first 2 shown]
	s_waitcnt vmcnt(4)
	v_perm_b32 v13, v2, v11, 0x5040100
	s_waitcnt vmcnt(3)
	v_perm_b32 v15, v8, v7, 0x5040100
	;; [unrolled: 2-line block ×4, first 2 shown]
	v_perm_b32 v17, v2, v11, 0x7060302
	v_perm_b32 v19, v14, v12, 0x7060302
	v_pk_add_f16 v2, v15, v13
	v_perm_b32 v18, v8, v7, 0x7060302
	v_pk_add_f16 v5, v5, v6
	v_pk_add_f16 v6, v19, v14 op_sel:[0,1] neg_lo:[0,1] neg_hi:[0,1]
	v_pk_add_f16 v7, v18, v17 neg_lo:[0,1] neg_hi:[0,1]
	v_pack_b32_f16 v8, v2, v5
	v_sub_f16_sdwa v10, v2, v5 dst_sel:DWORD dst_unused:UNUSED_PAD src0_sel:DWORD src1_sel:WORD_1
	v_add_f16_e32 v2, v5, v2
	v_add_f16_sdwa v11, v7, v6 dst_sel:DWORD dst_unused:UNUSED_PAD src0_sel:WORD_1 src1_sel:DWORD
	v_pk_add_f16 v8, v5, v8 neg_lo:[0,1] neg_hi:[0,1]
	v_alignbit_b32 v16, v6, v7, 16
	v_sub_f16_e32 v6, v6, v7
	v_add_f16_sdwa v2, v5, v2 dst_sel:DWORD dst_unused:UNUSED_PAD src0_sel:WORD_1 src1_sel:DWORD
	v_mul_f16_e32 v20, 0xba52, v10
	v_pk_mul_f16 v21, 0x2b2639e0, v8
	v_add_f16_e32 v11, v11, v7
	v_pk_add_f16 v7, v7, v16 neg_lo:[0,1] neg_hi:[0,1]
	v_mul_f16_e32 v6, 0xbb00, v6
	s_waitcnt vmcnt(0)
	v_add_f16_e32 v5, v2, v9
	v_pack_b32_f16 v20, v20, v21
	v_mul_f16_e32 v16, 0xb70e, v11
	v_pk_mul_f16 v22, 0x3846b574, v7
	v_pk_fma_f16 v7, 0x3846b574, v7, v6 op_sel_hi:[1,1,0] neg_lo:[0,1,1] neg_hi:[0,1,0]
	v_lshrrev_b32_e32 v21, 16, v21
	v_fmamk_f16 v2, v2, 0xbcab, v5
	v_pk_fma_f16 v8, 0x2b2639e0, v8, v20 neg_lo:[0,1,0] neg_hi:[0,1,0]
	v_add_f16_sdwa v6, v22, v22 dst_sel:DWORD dst_unused:UNUSED_PAD src0_sel:WORD_1 src1_sel:DWORD
	v_pk_add_f16 v7, v16, v7 op_sel_hi:[0,1]
	v_fmamk_f16 v10, v10, 0x3a52, v21
	v_mul_u32_u24_e32 v16, 0x54, v4
	v_pk_add_f16 v21, v8, v2 op_sel_hi:[1,0]
	v_fmac_f16_e32 v6, 0xb70e, v11
	v_add_f16_e32 v20, v10, v2
	v_lshlrev_b32_e32 v2, 1, v3
	v_pk_add_f16 v8, v7, v21
	v_pk_add_f16 v11, v21, v7 neg_lo:[0,1] neg_hi:[0,1]
	v_add_f16_e32 v10, v20, v6
	v_lshrrev_b32_e32 v7, 16, v8
	s_and_saveexec_b32 s0, s1
	s_cbranch_execz .LBB0_14
; %bb.13:
	v_add3_u32 v21, 0, v16, v2
	v_sub_f16_e32 v6, v20, v6
	ds_write_b16 v21, v5
	ds_write_b16 v21, v10 offset:12
	ds_write_b16 v21, v8 offset:24
	ds_write_b16_d16_hi v21, v11 offset:36
	ds_write_b16 v21, v7 offset:48
	ds_write_b16 v21, v11 offset:60
	;; [unrolled: 1-line block ×3, first 2 shown]
.LBB0_14:
	s_or_b32 exec_lo, exec_lo, s0
	v_perm_b32 v20, v14, v14, 0x7060302
	v_cmp_gt_u32_e64 s0, 0xa8, v0
	v_mul_u32_u24_e32 v6, 12, v4
	s_waitcnt lgkmcnt(0)
	s_barrier
	buffer_gl0_inv
	s_and_saveexec_b32 s4, s0
	s_cbranch_execz .LBB0_16
; %bb.15:
	v_add3_u32 v7, 0, v6, v2
	ds_read_u16 v11, v7 offset:1680
	ds_read_u16 v5, v7
	ds_read_u16 v10, v7 offset:336
	ds_read_u16 v8, v7 offset:672
	s_waitcnt lgkmcnt(3)
	ds_read_u16_d16_hi v11, v7 offset:1008
	ds_read_u16 v7, v7 offset:1344
.LBB0_16:
	s_or_b32 exec_lo, exec_lo, s4
	v_pk_add_f16 v19, v20, v19
	v_pk_add_f16 v17, v17, v18
	v_sub_f16_e32 v12, v12, v14
	v_pk_add_f16 v13, v15, v13 neg_lo:[0,1] neg_hi:[0,1]
	s_waitcnt lgkmcnt(0)
	s_barrier
	v_pk_add_f16 v18, v19, v17
	v_sub_f16_e32 v15, v19, v17
	v_sub_f16_sdwa v21, v17, v17 dst_sel:DWORD dst_unused:UNUSED_PAD src0_sel:DWORD src1_sel:WORD_1
	v_add_f16_sdwa v20, v13, v12 dst_sel:DWORD dst_unused:UNUSED_PAD src0_sel:WORD_1 src1_sel:DWORD
	buffer_gl0_inv
	v_pack_b32_f16 v14, v18, v19
	v_mul_f16_e32 v22, 0x39e0, v15
	v_mul_f16_e32 v23, 0x3a52, v21
	v_mov_b32_e32 v18, 0x2b26
	v_add_f16_e32 v20, v20, v13
	v_pk_add_f16 v19, v17, v14 op_sel:[1,0]
	v_pk_add_f16 v14, v17, v14 neg_lo:[0,1] neg_hi:[0,1]
	v_alignbit_b32 v17, v12, v13, 16
	v_sub_f16_e32 v12, v12, v13
	v_fma_f16 v15, v15, 0xb9e0, -v23
	v_add_f16_sdwa v9, v19, v9 dst_sel:DWORD dst_unused:UNUSED_PAD src0_sel:DWORD src1_sel:WORD_1
	v_bfi_b32 v19, 0xffff, v19, v14
	v_pk_add_f16 v13, v13, v17 neg_lo:[0,1] neg_hi:[0,1]
	v_mul_f16_e32 v12, 0xbb00, v12
	v_mul_f16_sdwa v14, v14, v18 dst_sel:DWORD dst_unused:UNUSED_PAD src0_sel:WORD_1 src1_sel:DWORD
	v_pack_b32_f16 v22, v9, v22
	v_fmac_f16_e32 v14, 0x3a52, v21
	v_pk_fma_f16 v17, 0xab26bcab, v19, v22
	v_mul_f16_e32 v19, 0xb70e, v20
	v_pk_mul_f16 v22, 0x3846b574, v13
	v_pk_fma_f16 v13, 0x3846b574, v13, v12 op_sel_hi:[1,1,0] neg_lo:[0,1,1] neg_hi:[0,1,0]
	v_pack_b32_f16 v15, v15, v17
	v_add_f16_sdwa v12, v22, v22 dst_sel:DWORD dst_unused:UNUSED_PAD src0_sel:WORD_1 src1_sel:DWORD
	v_pk_add_f16 v19, v19, v13 op_sel_hi:[0,1]
	v_add_f16_e32 v13, v14, v17
	v_pk_add_f16 v21, v17, v15
	v_fmac_f16_e32 v12, 0xb70e, v20
	v_pk_add_f16 v14, v21, v19 neg_lo:[0,1] neg_hi:[0,1]
	v_pk_add_f16 v19, v19, v21
	v_sub_f16_e32 v18, v13, v12
	v_lshrrev_b32_e32 v15, 16, v14
	s_and_saveexec_b32 s4, s1
	s_cbranch_execz .LBB0_18
; %bb.17:
	v_add3_u32 v16, 0, v16, v2
	v_add_f16_e32 v12, v12, v13
	ds_write_b16 v16, v9
	ds_write_b16 v16, v18 offset:12
	ds_write_b16 v16, v14 offset:24
	ds_write_b16_d16_hi v16, v19 offset:36
	ds_write_b16 v16, v15 offset:48
	ds_write_b16 v16, v19 offset:60
	;; [unrolled: 1-line block ×3, first 2 shown]
.LBB0_18:
	s_or_b32 exec_lo, exec_lo, s4
	s_waitcnt lgkmcnt(0)
	s_barrier
	buffer_gl0_inv
	s_and_saveexec_b32 s1, s0
	s_cbranch_execz .LBB0_20
; %bb.19:
	v_add3_u32 v12, 0, v6, v2
	ds_read_u16 v19, v12 offset:1680
	ds_read_u16 v9, v12
	ds_read_u16 v18, v12 offset:336
	ds_read_u16 v14, v12 offset:672
	s_waitcnt lgkmcnt(3)
	ds_read_u16_d16_hi v19, v12 offset:1008
	ds_read_u16 v15, v12 offset:1344
.LBB0_20:
	s_or_b32 exec_lo, exec_lo, s1
	v_mul_lo_u16 v12, v4, 37
	v_lshrrev_b32_e32 v17, 16, v11
	s_waitcnt lgkmcnt(1)
	v_lshrrev_b32_e32 v29, 16, v19
	v_lshrrev_b16 v27, 8, v12
	v_mul_lo_u16 v12, v27, 7
	v_sub_nc_u16 v12, v4, v12
	v_and_b32_e32 v12, 0xff, v12
	v_mul_u32_u24_e32 v13, 5, v12
	v_lshlrev_b32_e32 v13, 2, v13
	s_clause 0x1
	global_load_dwordx4 v[20:23], v13, s[26:27]
	global_load_dword v28, v13, s[26:27] offset:16
	s_load_dwordx2 s[2:3], s[2:3], 0x0
	s_waitcnt vmcnt(0) lgkmcnt(0)
	s_barrier
	buffer_gl0_inv
	v_mul_f16_sdwa v26, v29, v22 dst_sel:DWORD dst_unused:UNUSED_PAD src0_sel:DWORD src1_sel:WORD_1
	v_mul_f16_sdwa v32, v17, v22 dst_sel:DWORD dst_unused:UNUSED_PAD src0_sel:DWORD src1_sel:WORD_1
	v_mul_f16_sdwa v24, v19, v28 dst_sel:DWORD dst_unused:UNUSED_PAD src0_sel:DWORD src1_sel:WORD_1
	v_mul_f16_sdwa v33, v11, v28 dst_sel:DWORD dst_unused:UNUSED_PAD src0_sel:DWORD src1_sel:WORD_1
	v_mul_f16_sdwa v25, v18, v20 dst_sel:DWORD dst_unused:UNUSED_PAD src0_sel:DWORD src1_sel:WORD_1
	v_mul_f16_sdwa v30, v10, v20 dst_sel:DWORD dst_unused:UNUSED_PAD src0_sel:DWORD src1_sel:WORD_1
	v_mul_f16_sdwa v13, v14, v21 dst_sel:DWORD dst_unused:UNUSED_PAD src0_sel:DWORD src1_sel:WORD_1
	v_fmac_f16_e32 v26, v17, v22
	v_fmac_f16_e32 v24, v11, v28
	v_fma_f16 v17, v29, v22, -v32
	v_fma_f16 v11, v19, v28, -v33
	v_mul_f16_sdwa v31, v8, v21 dst_sel:DWORD dst_unused:UNUSED_PAD src0_sel:DWORD src1_sel:WORD_1
	v_fmac_f16_e32 v25, v10, v20
	v_fma_f16 v18, v18, v20, -v30
	v_add_f16_e32 v10, v26, v24
	v_fmac_f16_e32 v13, v8, v21
	v_add_f16_e32 v8, v17, v11
	v_mul_f16_sdwa v16, v15, v23 dst_sel:DWORD dst_unused:UNUSED_PAD src0_sel:DWORD src1_sel:WORD_1
	v_mul_f16_sdwa v34, v7, v23 dst_sel:DWORD dst_unused:UNUSED_PAD src0_sel:DWORD src1_sel:WORD_1
	v_fma_f16 v22, v14, v21, -v31
	v_sub_f16_e32 v21, v17, v11
	v_fma_f16 v14, -0.5, v10, v25
	v_sub_f16_e32 v10, v26, v24
	v_fma_f16 v20, -0.5, v8, v18
	v_fmac_f16_e32 v16, v7, v23
	v_fma_f16 v19, v15, v23, -v34
	v_fmamk_f16 v15, v21, 0xbaee, v14
	v_fmac_f16_e32 v14, 0x3aee, v21
	v_fmamk_f16 v23, v10, 0x3aee, v20
	v_fmac_f16_e32 v20, 0xbaee, v10
	v_and_b32_e32 v21, 0xffff, v27
	s_and_saveexec_b32 s1, s0
	s_cbranch_execz .LBB0_22
; %bb.21:
	v_add_f16_e32 v7, v13, v16
	v_add_f16_e32 v28, v5, v13
	v_sub_f16_e32 v8, v22, v19
	v_mul_f16_e32 v27, 0xbaee, v23
	v_mul_f16_e32 v10, 0xbaee, v20
	v_fma_f16 v5, -0.5, v7, v5
	v_add_f16_e32 v7, v25, v26
	v_mad_u32_u24 v25, v21, 42, v12
	v_add_f16_e32 v28, v28, v16
	v_fmac_f16_e32 v27, 0.5, v15
	v_fmamk_f16 v26, v8, 0x3aee, v5
	v_add_f16_e32 v7, v7, v24
	v_mul_u32_u24_e32 v24, 12, v25
	v_fmac_f16_e32 v5, 0xbaee, v8
	v_fmac_f16_e32 v10, -0.5, v14
	v_add_f16_e32 v25, v28, v7
	v_add3_u32 v24, 0, v24, v2
	v_add_f16_e32 v29, v5, v27
	v_sub_f16_e32 v8, v26, v10
	v_add_f16_e32 v10, v26, v10
	v_sub_f16_e32 v7, v28, v7
	v_sub_f16_e32 v5, v5, v27
	ds_write_b16 v24, v25
	ds_write_b16 v24, v29 offset:84
	ds_write_b16 v24, v10 offset:168
	ds_write_b16 v24, v7 offset:252
	ds_write_b16 v24, v5 offset:336
	ds_write_b16 v24, v8 offset:420
.LBB0_22:
	s_or_b32 exec_lo, exec_lo, s1
	v_add3_u32 v10, 0, v6, v2
	s_waitcnt lgkmcnt(0)
	s_barrier
	buffer_gl0_inv
	ds_read_u16 v5, v10
	ds_read_u16 v8, v10 offset:504
	ds_read_u16 v7, v10 offset:1008
	;; [unrolled: 1-line block ×3, first 2 shown]
	s_waitcnt lgkmcnt(0)
	s_barrier
	buffer_gl0_inv
	s_and_saveexec_b32 s1, s0
	s_cbranch_execz .LBB0_24
; %bb.23:
	v_add_f16_e32 v24, v22, v19
	v_add_f16_e32 v22, v9, v22
	v_sub_f16_e32 v13, v13, v16
	v_add_f16_e32 v16, v18, v17
	v_mad_u32_u24 v12, v21, 42, v12
	v_fmac_f16_e32 v9, -0.5, v24
	v_mul_f16_e32 v17, 0.5, v23
	v_mul_f16_e32 v18, -0.5, v20
	v_add_f16_e32 v19, v22, v19
	v_add_f16_e32 v11, v16, v11
	v_mul_u32_u24_e32 v12, 12, v12
	v_fmamk_f16 v20, v13, 0x3aee, v9
	v_fmac_f16_e32 v17, 0x3aee, v15
	v_fmamk_f16 v9, v13, 0xbaee, v9
	v_fmac_f16_e32 v18, 0x3aee, v14
	v_add_f16_e32 v13, v19, v11
	v_add3_u32 v2, 0, v12, v2
	v_add_f16_e32 v14, v20, v17
	v_sub_f16_e32 v11, v19, v11
	v_add_f16_e32 v12, v9, v18
	v_sub_f16_e32 v15, v20, v17
	v_sub_f16_e32 v9, v9, v18
	ds_write_b16 v2, v13
	ds_write_b16 v2, v14 offset:84
	ds_write_b16 v2, v12 offset:168
	;; [unrolled: 1-line block ×5, first 2 shown]
.LBB0_24:
	s_or_b32 exec_lo, exec_lo, s1
	v_mul_lo_u16 v2, v4, 49
	v_mov_b32_e32 v14, 2
	s_waitcnt lgkmcnt(0)
	s_barrier
	buffer_gl0_inv
	v_lshrrev_b16 v2, 11, v2
	v_mov_b32_e32 v23, 0x105
	v_mul_lo_u32 v3, s10, v3
	s_or_b32 vcc_lo, s11, vcc_lo
	s_mul_i32 s4, s2, s24
	v_mul_lo_u16 v2, v2, 42
	v_mul_u32_u24_sdwa v0, v0, v23 dst_sel:DWORD dst_unused:UNUSED_PAD src0_sel:WORD_0 src1_sel:DWORD
	s_add_i32 s4, s4, s9
	s_mov_b32 s3, 0x31014000
	s_mov_b32 s2, -2
	v_sub_nc_u16 v2, v4, v2
	v_lshrrev_b32_e32 v0, 16, v0
	s_mov_b32 s0, s14
	s_mov_b32 s1, s15
	s_lshl_b32 s4, s4, 2
	v_and_b32_e32 v2, 0xff, v2
	v_mul_lo_u16 v0, 0xa8, v0
	v_mul_u32_u24_e32 v4, 3, v2
	v_mul_lo_u32 v9, v1, v2
	v_add_nc_u32_e32 v15, 42, v2
	v_add_nc_u32_e32 v17, 0x54, v2
	;; [unrolled: 1-line block ×3, first 2 shown]
	v_lshlrev_b32_e32 v4, 2, v4
	v_add_nc_u32_sdwa v0, v2, v0 dst_sel:DWORD dst_unused:UNUSED_PAD src0_sel:DWORD src1_sel:WORD_0
	v_mul_lo_u32 v15, v1, v15
	v_mul_lo_u32 v17, v1, v17
	v_lshlrev_b32_sdwa v16, v14, v9 dst_sel:DWORD dst_unused:UNUSED_PAD src0_sel:DWORD src1_sel:BYTE_1
	global_load_dwordx3 v[11:13], v4, s[26:27] offset:140
	v_lshlrev_b32_sdwa v4, v14, v9 dst_sel:DWORD dst_unused:UNUSED_PAD src0_sel:DWORD src1_sel:BYTE_0
	v_bfe_u32 v9, v9, 16, 8
	v_mul_lo_u32 v1, v1, v18
	v_add_nc_u32_e32 v25, 42, v0
	s_clause 0x1
	global_load_dword v4, v4, s[16:17]
	global_load_dword v16, v16, s[16:17] offset:1024
	v_lshlrev_b32_sdwa v19, v14, v15 dst_sel:DWORD dst_unused:UNUSED_PAD src0_sel:DWORD src1_sel:BYTE_0
	v_lshlrev_b32_sdwa v20, v14, v15 dst_sel:DWORD dst_unused:UNUSED_PAD src0_sel:DWORD src1_sel:BYTE_1
	v_lshl_or_b32 v9, v9, 2, 0x800
	v_bfe_u32 v15, v15, 16, 8
	s_clause 0x2
	global_load_dword v18, v19, s[16:17]
	global_load_dword v19, v20, s[16:17] offset:1024
	global_load_dword v9, v9, s[16:17]
	v_lshlrev_b32_sdwa v20, v14, v17 dst_sel:DWORD dst_unused:UNUSED_PAD src0_sel:DWORD src1_sel:BYTE_0
	v_lshlrev_b32_sdwa v21, v14, v17 dst_sel:DWORD dst_unused:UNUSED_PAD src0_sel:DWORD src1_sel:BYTE_1
	v_lshlrev_b32_sdwa v22, v14, v1 dst_sel:DWORD dst_unused:UNUSED_PAD src0_sel:DWORD src1_sel:BYTE_0
	v_lshlrev_b32_sdwa v14, v14, v1 dst_sel:DWORD dst_unused:UNUSED_PAD src0_sel:DWORD src1_sel:BYTE_1
	v_lshl_or_b32 v15, v15, 2, 0x800
	s_clause 0x3
	global_load_dword v20, v20, s[16:17]
	global_load_dword v21, v21, s[16:17] offset:1024
	global_load_dword v22, v22, s[16:17]
	global_load_dword v14, v14, s[16:17] offset:1024
	v_bfe_u32 v17, v17, 16, 8
	v_bfe_u32 v1, v1, 16, 8
	v_add_nc_u32_e32 v26, 0x54, v0
	global_load_dword v15, v15, s[16:17]
	v_mul_lo_u32 v27, s8, v0
	v_lshl_or_b32 v17, v17, 2, 0x800
	v_lshl_or_b32 v1, v1, 2, 0x800
	s_clause 0x1
	global_load_dword v17, v17, s[16:17]
	global_load_dword v1, v1, s[16:17]
	ds_read_u16 v2, v10
	ds_read_u16 v23, v10 offset:504
	ds_read_u16 v24, v10 offset:1008
	;; [unrolled: 1-line block ×3, first 2 shown]
	v_add_nc_u32_e32 v0, 0x7e, v0
	v_mul_lo_u32 v25, s8, v25
	v_mul_lo_u32 v26, s8, v26
	v_add_lshl_u32 v27, v3, v27, 2
	v_mul_lo_u32 v0, s8, v0
	v_cndmask_b32_e32 v27, -1, v27, vcc_lo
	v_add_lshl_u32 v25, v3, v25, 2
	v_add_lshl_u32 v26, v3, v26, 2
	;; [unrolled: 1-line block ×3, first 2 shown]
	v_cndmask_b32_e32 v3, -1, v25, vcc_lo
	v_cndmask_b32_e32 v25, -1, v26, vcc_lo
	;; [unrolled: 1-line block ×3, first 2 shown]
	s_waitcnt vmcnt(12) lgkmcnt(2)
	v_mul_f16_sdwa v26, v23, v11 dst_sel:DWORD dst_unused:UNUSED_PAD src0_sel:DWORD src1_sel:WORD_1
	v_mul_f16_sdwa v28, v8, v11 dst_sel:DWORD dst_unused:UNUSED_PAD src0_sel:DWORD src1_sel:WORD_1
	s_waitcnt lgkmcnt(1)
	v_mul_f16_sdwa v29, v24, v12 dst_sel:DWORD dst_unused:UNUSED_PAD src0_sel:DWORD src1_sel:WORD_1
	v_mul_f16_sdwa v30, v7, v12 dst_sel:DWORD dst_unused:UNUSED_PAD src0_sel:DWORD src1_sel:WORD_1
	s_waitcnt lgkmcnt(0)
	v_mul_f16_sdwa v31, v10, v13 dst_sel:DWORD dst_unused:UNUSED_PAD src0_sel:DWORD src1_sel:WORD_1
	v_mul_f16_sdwa v32, v6, v13 dst_sel:DWORD dst_unused:UNUSED_PAD src0_sel:DWORD src1_sel:WORD_1
	s_waitcnt vmcnt(11)
	v_lshrrev_b32_e32 v33, 16, v4
	s_waitcnt vmcnt(10)
	v_mul_f16_sdwa v34, v4, v16 dst_sel:DWORD dst_unused:UNUSED_PAD src0_sel:DWORD src1_sel:WORD_1
	v_fmac_f16_e32 v26, v8, v11
	v_fma_f16 v8, v23, v11, -v28
	v_fmac_f16_e32 v29, v7, v12
	v_fma_f16 v7, v24, v12, -v30
	;; [unrolled: 2-line block ×3, first 2 shown]
	v_mul_f16_sdwa v10, v33, v16 dst_sel:DWORD dst_unused:UNUSED_PAD src0_sel:DWORD src1_sel:WORD_1
	v_fmac_f16_e32 v34, v33, v16
	s_waitcnt vmcnt(9)
	v_lshrrev_b32_e32 v11, 16, v18
	s_waitcnt vmcnt(8)
	v_mul_f16_sdwa v12, v18, v19 dst_sel:DWORD dst_unused:UNUSED_PAD src0_sel:DWORD src1_sel:WORD_1
	v_sub_f16_e32 v13, v5, v29
	v_sub_f16_e32 v7, v2, v7
	;; [unrolled: 1-line block ×4, first 2 shown]
	v_fma_f16 v4, v4, v16, -v10
	s_waitcnt vmcnt(7)
	v_mul_f16_sdwa v10, v34, v9 dst_sel:DWORD dst_unused:UNUSED_PAD src0_sel:DWORD src1_sel:WORD_1
	v_mul_f16_sdwa v16, v11, v19 dst_sel:DWORD dst_unused:UNUSED_PAD src0_sel:DWORD src1_sel:WORD_1
	v_fmac_f16_e32 v12, v11, v19
	s_waitcnt vmcnt(6)
	v_lshrrev_b32_e32 v11, 16, v20
	s_waitcnt vmcnt(5)
	v_mul_f16_sdwa v24, v20, v21 dst_sel:DWORD dst_unused:UNUSED_PAD src0_sel:DWORD src1_sel:WORD_1
	s_waitcnt vmcnt(4)
	v_lshrrev_b32_e32 v28, 16, v22
	s_waitcnt vmcnt(3)
	v_mul_f16_sdwa v29, v22, v14 dst_sel:DWORD dst_unused:UNUSED_PAD src0_sel:DWORD src1_sel:WORD_1
	v_fma_f16 v5, v5, 2.0, -v13
	v_fma_f16 v2, v2, 2.0, -v7
	v_fma_f16 v26, v26, 2.0, -v23
	v_fma_f16 v8, v8, 2.0, -v6
	v_fma_f16 v10, v9, v4, -v10
	v_mul_f16_sdwa v4, v4, v9 dst_sel:DWORD dst_unused:UNUSED_PAD src0_sel:DWORD src1_sel:WORD_1
	v_fma_f16 v16, v18, v19, -v16
	s_waitcnt vmcnt(2)
	v_mul_f16_sdwa v18, v12, v15 dst_sel:DWORD dst_unused:UNUSED_PAD src0_sel:DWORD src1_sel:WORD_1
	v_mul_f16_sdwa v19, v11, v21 dst_sel:DWORD dst_unused:UNUSED_PAD src0_sel:DWORD src1_sel:WORD_1
	v_fmac_f16_e32 v24, v11, v21
	v_mul_f16_sdwa v11, v28, v14 dst_sel:DWORD dst_unused:UNUSED_PAD src0_sel:DWORD src1_sel:WORD_1
	v_fmac_f16_e32 v29, v28, v14
	v_sub_f16_e32 v26, v5, v26
	v_sub_f16_e32 v8, v2, v8
	v_fmac_f16_e32 v4, v9, v34
	v_fma_f16 v9, v15, v16, -v18
	v_mul_f16_sdwa v16, v16, v15 dst_sel:DWORD dst_unused:UNUSED_PAD src0_sel:DWORD src1_sel:WORD_1
	v_fma_f16 v18, v20, v21, -v19
	v_fma_f16 v11, v22, v14, -v11
	s_waitcnt vmcnt(0)
	v_mul_f16_sdwa v14, v29, v1 dst_sel:DWORD dst_unused:UNUSED_PAD src0_sel:DWORD src1_sel:WORD_1
	v_add_f16_e32 v6, v13, v6
	v_sub_f16_e32 v23, v7, v23
	v_mul_f16_sdwa v19, v24, v17 dst_sel:DWORD dst_unused:UNUSED_PAD src0_sel:DWORD src1_sel:WORD_1
	v_fma_f16 v5, v5, 2.0, -v26
	v_fma_f16 v2, v2, 2.0, -v8
	v_fmac_f16_e32 v16, v15, v12
	v_mul_f16_sdwa v15, v18, v17 dst_sel:DWORD dst_unused:UNUSED_PAD src0_sel:DWORD src1_sel:WORD_1
	v_fma_f16 v14, v1, v11, -v14
	v_mul_f16_sdwa v11, v11, v1 dst_sel:DWORD dst_unused:UNUSED_PAD src0_sel:DWORD src1_sel:WORD_1
	v_fma_f16 v13, v13, 2.0, -v6
	v_fma_f16 v7, v7, 2.0, -v23
	v_fma_f16 v12, v17, v18, -v19
	v_mul_f16_e32 v18, v2, v4
	v_mul_f16_e32 v4, v5, v4
	v_fmac_f16_e32 v15, v17, v24
	v_fmac_f16_e32 v11, v1, v29
	v_mul_f16_e32 v19, v7, v16
	v_mul_f16_e32 v16, v13, v16
	v_fma_f16 v1, v2, v10, -v4
	v_mul_f16_e32 v4, v26, v15
	v_fmac_f16_e32 v18, v5, v10
	v_mul_f16_e32 v5, v6, v11
	v_fma_f16 v2, v7, v9, -v16
	v_mul_f16_e32 v7, v8, v15
	v_fma_f16 v4, v8, v12, -v4
	v_fmac_f16_e32 v19, v13, v9
	v_mul_f16_e32 v9, v23, v11
	v_fma_f16 v5, v23, v14, -v5
	v_lshlrev_b32_e32 v1, 16, v1
	v_lshlrev_b32_e32 v2, 16, v2
	v_fmac_f16_e32 v7, v26, v12
	v_lshlrev_b32_e32 v4, 16, v4
	v_fmac_f16_e32 v9, v6, v14
	v_lshlrev_b32_e32 v5, 16, v5
	v_or_b32_sdwa v1, v1, v18 dst_sel:DWORD dst_unused:UNUSED_PAD src0_sel:DWORD src1_sel:WORD_0
	v_or_b32_sdwa v2, v2, v19 dst_sel:DWORD dst_unused:UNUSED_PAD src0_sel:DWORD src1_sel:WORD_0
	;; [unrolled: 1-line block ×4, first 2 shown]
	buffer_store_dword v1, v27, s[0:3], s4 offen
	buffer_store_dword v2, v3, s[0:3], s4 offen
	;; [unrolled: 1-line block ×4, first 2 shown]
	s_endpgm
	.section	.rodata,"a",@progbits
	.p2align	6, 0x0
	.amdhsa_kernel fft_rtc_back_len168_factors_7_6_4_wgs_252_tpt_42_halfLds_half_op_CI_CI_sbcc_twdbase8_3step_dirReg_intrinsicReadWrite
		.amdhsa_group_segment_fixed_size 0
		.amdhsa_private_segment_fixed_size 0
		.amdhsa_kernarg_size 112
		.amdhsa_user_sgpr_count 6
		.amdhsa_user_sgpr_private_segment_buffer 1
		.amdhsa_user_sgpr_dispatch_ptr 0
		.amdhsa_user_sgpr_queue_ptr 0
		.amdhsa_user_sgpr_kernarg_segment_ptr 1
		.amdhsa_user_sgpr_dispatch_id 0
		.amdhsa_user_sgpr_flat_scratch_init 0
		.amdhsa_user_sgpr_private_segment_size 0
		.amdhsa_wavefront_size32 1
		.amdhsa_uses_dynamic_stack 0
		.amdhsa_system_sgpr_private_segment_wavefront_offset 0
		.amdhsa_system_sgpr_workgroup_id_x 1
		.amdhsa_system_sgpr_workgroup_id_y 0
		.amdhsa_system_sgpr_workgroup_id_z 0
		.amdhsa_system_sgpr_workgroup_info 0
		.amdhsa_system_vgpr_workitem_id 0
		.amdhsa_next_free_vgpr 35
		.amdhsa_next_free_sgpr 55
		.amdhsa_reserve_vcc 1
		.amdhsa_reserve_flat_scratch 0
		.amdhsa_float_round_mode_32 0
		.amdhsa_float_round_mode_16_64 0
		.amdhsa_float_denorm_mode_32 3
		.amdhsa_float_denorm_mode_16_64 3
		.amdhsa_dx10_clamp 1
		.amdhsa_ieee_mode 1
		.amdhsa_fp16_overflow 0
		.amdhsa_workgroup_processor_mode 1
		.amdhsa_memory_ordered 1
		.amdhsa_forward_progress 0
		.amdhsa_shared_vgpr_count 0
		.amdhsa_exception_fp_ieee_invalid_op 0
		.amdhsa_exception_fp_denorm_src 0
		.amdhsa_exception_fp_ieee_div_zero 0
		.amdhsa_exception_fp_ieee_overflow 0
		.amdhsa_exception_fp_ieee_underflow 0
		.amdhsa_exception_fp_ieee_inexact 0
		.amdhsa_exception_int_div_zero 0
	.end_amdhsa_kernel
	.text
.Lfunc_end0:
	.size	fft_rtc_back_len168_factors_7_6_4_wgs_252_tpt_42_halfLds_half_op_CI_CI_sbcc_twdbase8_3step_dirReg_intrinsicReadWrite, .Lfunc_end0-fft_rtc_back_len168_factors_7_6_4_wgs_252_tpt_42_halfLds_half_op_CI_CI_sbcc_twdbase8_3step_dirReg_intrinsicReadWrite
                                        ; -- End function
	.section	.AMDGPU.csdata,"",@progbits
; Kernel info:
; codeLenInByte = 5096
; NumSgprs: 57
; NumVgprs: 35
; ScratchSize: 0
; MemoryBound: 0
; FloatMode: 240
; IeeeMode: 1
; LDSByteSize: 0 bytes/workgroup (compile time only)
; SGPRBlocks: 7
; VGPRBlocks: 4
; NumSGPRsForWavesPerEU: 57
; NumVGPRsForWavesPerEU: 35
; Occupancy: 16
; WaveLimiterHint : 0
; COMPUTE_PGM_RSRC2:SCRATCH_EN: 0
; COMPUTE_PGM_RSRC2:USER_SGPR: 6
; COMPUTE_PGM_RSRC2:TRAP_HANDLER: 0
; COMPUTE_PGM_RSRC2:TGID_X_EN: 1
; COMPUTE_PGM_RSRC2:TGID_Y_EN: 0
; COMPUTE_PGM_RSRC2:TGID_Z_EN: 0
; COMPUTE_PGM_RSRC2:TIDIG_COMP_CNT: 0
	.text
	.p2alignl 6, 3214868480
	.fill 48, 4, 3214868480
	.type	__hip_cuid_57a83e222ebe872d,@object ; @__hip_cuid_57a83e222ebe872d
	.section	.bss,"aw",@nobits
	.globl	__hip_cuid_57a83e222ebe872d
__hip_cuid_57a83e222ebe872d:
	.byte	0                               ; 0x0
	.size	__hip_cuid_57a83e222ebe872d, 1

	.ident	"AMD clang version 19.0.0git (https://github.com/RadeonOpenCompute/llvm-project roc-6.4.0 25133 c7fe45cf4b819c5991fe208aaa96edf142730f1d)"
	.section	".note.GNU-stack","",@progbits
	.addrsig
	.addrsig_sym __hip_cuid_57a83e222ebe872d
	.amdgpu_metadata
---
amdhsa.kernels:
  - .args:
      - .actual_access:  read_only
        .address_space:  global
        .offset:         0
        .size:           8
        .value_kind:     global_buffer
      - .address_space:  global
        .offset:         8
        .size:           8
        .value_kind:     global_buffer
      - .offset:         16
        .size:           8
        .value_kind:     by_value
      - .actual_access:  read_only
        .address_space:  global
        .offset:         24
        .size:           8
        .value_kind:     global_buffer
      - .actual_access:  read_only
        .address_space:  global
        .offset:         32
        .size:           8
        .value_kind:     global_buffer
      - .actual_access:  read_only
        .address_space:  global
        .offset:         40
        .size:           8
        .value_kind:     global_buffer
      - .offset:         48
        .size:           8
        .value_kind:     by_value
      - .actual_access:  read_only
        .address_space:  global
        .offset:         56
        .size:           8
        .value_kind:     global_buffer
      - .actual_access:  read_only
        .address_space:  global
        .offset:         64
        .size:           8
        .value_kind:     global_buffer
      - .offset:         72
        .size:           4
        .value_kind:     by_value
      - .actual_access:  read_only
        .address_space:  global
        .offset:         80
        .size:           8
        .value_kind:     global_buffer
      - .actual_access:  read_only
        .address_space:  global
        .offset:         88
        .size:           8
        .value_kind:     global_buffer
      - .address_space:  global
        .offset:         96
        .size:           8
        .value_kind:     global_buffer
      - .address_space:  global
        .offset:         104
        .size:           8
        .value_kind:     global_buffer
    .group_segment_fixed_size: 0
    .kernarg_segment_align: 8
    .kernarg_segment_size: 112
    .language:       OpenCL C
    .language_version:
      - 2
      - 0
    .max_flat_workgroup_size: 252
    .name:           fft_rtc_back_len168_factors_7_6_4_wgs_252_tpt_42_halfLds_half_op_CI_CI_sbcc_twdbase8_3step_dirReg_intrinsicReadWrite
    .private_segment_fixed_size: 0
    .sgpr_count:     57
    .sgpr_spill_count: 0
    .symbol:         fft_rtc_back_len168_factors_7_6_4_wgs_252_tpt_42_halfLds_half_op_CI_CI_sbcc_twdbase8_3step_dirReg_intrinsicReadWrite.kd
    .uniform_work_group_size: 1
    .uses_dynamic_stack: false
    .vgpr_count:     35
    .vgpr_spill_count: 0
    .wavefront_size: 32
    .workgroup_processor_mode: 1
amdhsa.target:   amdgcn-amd-amdhsa--gfx1030
amdhsa.version:
  - 1
  - 2
...

	.end_amdgpu_metadata
